;; amdgpu-corpus repo=ROCm/rocFFT kind=compiled arch=gfx1201 opt=O3
	.text
	.amdgcn_target "amdgcn-amd-amdhsa--gfx1201"
	.amdhsa_code_object_version 6
	.protected	fft_rtc_back_len280_factors_8_5_7_wgs_392_tpt_56_dp_op_CI_CI_sbcc_twdbase8_2step ; -- Begin function fft_rtc_back_len280_factors_8_5_7_wgs_392_tpt_56_dp_op_CI_CI_sbcc_twdbase8_2step
	.globl	fft_rtc_back_len280_factors_8_5_7_wgs_392_tpt_56_dp_op_CI_CI_sbcc_twdbase8_2step
	.p2align	8
	.type	fft_rtc_back_len280_factors_8_5_7_wgs_392_tpt_56_dp_op_CI_CI_sbcc_twdbase8_2step,@function
fft_rtc_back_len280_factors_8_5_7_wgs_392_tpt_56_dp_op_CI_CI_sbcc_twdbase8_2step: ; @fft_rtc_back_len280_factors_8_5_7_wgs_392_tpt_56_dp_op_CI_CI_sbcc_twdbase8_2step
; %bb.0:
	s_clause 0x1
	s_load_b128 s[12:15], s[0:1], 0x18
	s_load_b64 s[26:27], s[0:1], 0x28
	s_mov_b32 s3, 0
	s_mov_b32 s4, 0x92481000
	s_movk_i32 s5, 0x64
	s_mov_b32 s2, s3
	s_mov_b64 s[22:23], 0
	s_add_nc_u64 s[4:5], s[2:3], s[4:5]
	s_delay_alu instid0(SALU_CYCLE_1) | instskip(NEXT) | instid1(SALU_CYCLE_1)
	s_add_co_i32 s5, s5, 0x249248c0
	s_mul_u64 s[6:7], s[4:5], -7
	s_delay_alu instid0(SALU_CYCLE_1)
	s_mul_hi_u32 s9, s4, s7
	s_mul_i32 s8, s4, s7
	s_mul_hi_u32 s2, s4, s6
	s_mul_i32 s11, s5, s6
	s_add_nc_u64 s[8:9], s[2:3], s[8:9]
	s_mul_hi_u32 s10, s5, s6
	s_mul_hi_u32 s16, s5, s7
	s_wait_kmcnt 0x0
	s_load_b64 s[30:31], s[12:13], 0x8
	s_add_co_u32 s2, s8, s11
	s_add_co_ci_u32 s2, s9, s10
	s_mul_i32 s6, s5, s7
	s_add_co_ci_u32 s7, s16, 0
	s_delay_alu instid0(SALU_CYCLE_1) | instskip(NEXT) | instid1(SALU_CYCLE_1)
	s_add_nc_u64 s[6:7], s[2:3], s[6:7]
	v_add_co_u32 v1, s2, s4, s6
	s_delay_alu instid0(VALU_DEP_1) | instskip(SKIP_1) | instid1(VALU_DEP_1)
	s_cmp_lg_u32 s2, 0
	s_add_co_ci_u32 s8, s5, s7
	v_readfirstlane_b32 s9, v1
	s_wait_kmcnt 0x0
	s_add_nc_u64 s[4:5], s[30:31], -1
	s_wait_alu 0xfffe
	s_mul_hi_u32 s7, s4, s8
	s_mul_i32 s6, s4, s8
	s_mul_hi_u32 s2, s4, s9
	s_mul_hi_u32 s11, s5, s9
	s_mul_i32 s9, s5, s9
	s_wait_alu 0xfffe
	s_add_nc_u64 s[6:7], s[2:3], s[6:7]
	s_mul_hi_u32 s10, s5, s8
	s_wait_alu 0xfffe
	s_add_co_u32 s2, s6, s9
	s_add_co_ci_u32 s2, s7, s11
	s_mul_i32 s8, s5, s8
	s_add_co_ci_u32 s9, s10, 0
	s_delay_alu instid0(SALU_CYCLE_1) | instskip(SKIP_2) | instid1(SALU_CYCLE_1)
	s_add_nc_u64 s[6:7], s[2:3], s[8:9]
	s_wait_alu 0xfffe
	s_mul_u64 s[8:9], s[6:7], 7
	v_sub_co_u32 v1, s2, s4, s8
	s_delay_alu instid0(VALU_DEP_1) | instskip(SKIP_1) | instid1(VALU_DEP_1)
	s_cmp_lg_u32 s2, 0
	s_sub_co_ci_u32 s10, s5, s9
	v_sub_co_u32 v2, s4, v1, 7
	s_delay_alu instid0(VALU_DEP_1) | instskip(SKIP_2) | instid1(VALU_DEP_2)
	s_cmp_lg_u32 s4, 0
	v_readfirstlane_b32 s11, v1
	s_sub_co_ci_u32 s8, s10, 0
	v_readfirstlane_b32 s2, v2
	s_add_nc_u64 s[4:5], s[6:7], 1
	s_delay_alu instid0(VALU_DEP_1)
	s_cmp_gt_u32 s2, 6
	s_cselect_b32 s2, -1, 0
	s_wait_alu 0xfffe
	s_cmp_eq_u32 s8, 0
	s_add_nc_u64 s[8:9], s[6:7], 2
	s_cselect_b32 s2, s2, -1
	s_delay_alu instid0(SALU_CYCLE_1)
	s_cmp_lg_u32 s2, 0
	s_wait_alu 0xfffe
	s_cselect_b32 s2, s8, s4
	s_cselect_b32 s4, s9, s5
	s_cmp_gt_u32 s11, 6
	s_cselect_b32 s5, -1, 0
	s_cmp_eq_u32 s10, 0
	s_wait_alu 0xfffe
	s_cselect_b32 s5, s5, -1
	s_wait_alu 0xfffe
	s_cmp_lg_u32 s5, 0
	s_cselect_b32 s5, s4, s7
	s_cselect_b32 s4, s2, s6
	s_mov_b32 s2, ttmp9
	s_wait_alu 0xfffe
	s_add_nc_u64 s[36:37], s[4:5], 1
	s_delay_alu instid0(SALU_CYCLE_1) | instskip(NEXT) | instid1(VALU_DEP_1)
	v_cmp_lt_u64_e64 s4, s[2:3], s[36:37]
	s_and_b32 vcc_lo, exec_lo, s4
	s_cbranch_vccnz .LBB0_2
; %bb.1:
	v_cvt_f32_u32_e32 v1, s36
	s_sub_co_i32 s5, 0, s36
	s_mov_b32 s23, s3
	s_delay_alu instid0(VALU_DEP_1) | instskip(NEXT) | instid1(TRANS32_DEP_1)
	v_rcp_iflag_f32_e32 v1, v1
	v_mul_f32_e32 v1, 0x4f7ffffe, v1
	s_delay_alu instid0(VALU_DEP_1) | instskip(NEXT) | instid1(VALU_DEP_1)
	v_cvt_u32_f32_e32 v1, v1
	v_readfirstlane_b32 s4, v1
	s_wait_alu 0xfffe
	s_delay_alu instid0(VALU_DEP_1)
	s_mul_i32 s5, s5, s4
	s_wait_alu 0xfffe
	s_mul_hi_u32 s5, s4, s5
	s_wait_alu 0xfffe
	s_add_co_i32 s4, s4, s5
	s_wait_alu 0xfffe
	s_mul_hi_u32 s4, s2, s4
	s_wait_alu 0xfffe
	s_mul_i32 s5, s4, s36
	s_add_co_i32 s6, s4, 1
	s_wait_alu 0xfffe
	s_sub_co_i32 s5, s2, s5
	s_wait_alu 0xfffe
	s_sub_co_i32 s7, s5, s36
	s_cmp_ge_u32 s5, s36
	s_cselect_b32 s4, s6, s4
	s_wait_alu 0xfffe
	s_cselect_b32 s5, s7, s5
	s_add_co_i32 s6, s4, 1
	s_wait_alu 0xfffe
	s_cmp_ge_u32 s5, s36
	s_cselect_b32 s22, s6, s4
.LBB0_2:
	s_load_b128 s[8:11], s[0:1], 0x8
	s_load_b128 s[16:19], s[14:15], 0x0
	;; [unrolled: 1-line block ×3, first 2 shown]
	s_load_b64 s[24:25], s[0:1], 0x0
	s_mul_u64 s[20:21], s[22:23], s[36:37]
	s_delay_alu instid0(SALU_CYCLE_1) | instskip(NEXT) | instid1(SALU_CYCLE_1)
	s_sub_nc_u64 s[20:21], s[2:3], s[20:21]
	s_mul_u64 s[28:29], s[20:21], 7
	s_wait_kmcnt 0x0
	v_cmp_lt_u64_e64 s33, s[10:11], 3
	s_mul_u64 s[34:35], s[18:19], s[28:29]
	s_mul_u64 s[20:21], s[6:7], s[28:29]
	s_delay_alu instid0(VALU_DEP_1)
	s_and_b32 vcc_lo, exec_lo, s33
	s_cbranch_vccnz .LBB0_12
; %bb.3:
	s_add_nc_u64 s[38:39], s[26:27], 16
	s_add_nc_u64 s[40:41], s[14:15], 16
	;; [unrolled: 1-line block ×3, first 2 shown]
	s_mov_b64 s[42:43], 2
	s_mov_b32 s44, 0
.LBB0_4:                                ; =>This Inner Loop Header: Depth=1
	s_load_b64 s[46:47], s[12:13], 0x0
                                        ; implicit-def: $sgpr50_sgpr51
	s_wait_kmcnt 0x0
	s_or_b64 s[48:49], s[22:23], s[46:47]
	s_delay_alu instid0(SALU_CYCLE_1)
	s_mov_b32 s45, s49
	s_mov_b32 s49, -1
	s_cmp_lg_u64 s[44:45], 0
	s_cbranch_scc0 .LBB0_6
; %bb.5:                                ;   in Loop: Header=BB0_4 Depth=1
	s_cvt_f32_u32 s33, s46
	s_cvt_f32_u32 s45, s47
	s_sub_nc_u64 s[52:53], 0, s[46:47]
	s_mov_b32 s49, 0
	s_mov_b32 s57, s44
	s_wait_alu 0xfffe
	s_fmamk_f32 s33, s45, 0x4f800000, s33
	s_wait_alu 0xfffe
	s_delay_alu instid0(SALU_CYCLE_2) | instskip(NEXT) | instid1(TRANS32_DEP_1)
	v_s_rcp_f32 s33, s33
	s_mul_f32 s33, s33, 0x5f7ffffc
	s_wait_alu 0xfffe
	s_delay_alu instid0(SALU_CYCLE_2) | instskip(NEXT) | instid1(SALU_CYCLE_3)
	s_mul_f32 s45, s33, 0x2f800000
	s_trunc_f32 s45, s45
	s_delay_alu instid0(SALU_CYCLE_3) | instskip(SKIP_2) | instid1(SALU_CYCLE_1)
	s_fmamk_f32 s33, s45, 0xcf800000, s33
	s_cvt_u32_f32 s51, s45
	s_wait_alu 0xfffe
	s_cvt_u32_f32 s50, s33
	s_wait_alu 0xfffe
	s_delay_alu instid0(SALU_CYCLE_2)
	s_mul_u64 s[54:55], s[52:53], s[50:51]
	s_wait_alu 0xfffe
	s_mul_hi_u32 s59, s50, s55
	s_mul_i32 s58, s50, s55
	s_mul_hi_u32 s48, s50, s54
	s_mul_i32 s45, s51, s54
	s_add_nc_u64 s[58:59], s[48:49], s[58:59]
	s_mul_hi_u32 s33, s51, s54
	s_mul_hi_u32 s60, s51, s55
	s_add_co_u32 s45, s58, s45
	s_wait_alu 0xfffe
	s_add_co_ci_u32 s56, s59, s33
	s_mul_i32 s54, s51, s55
	s_add_co_ci_u32 s55, s60, 0
	s_wait_alu 0xfffe
	s_add_nc_u64 s[54:55], s[56:57], s[54:55]
	s_wait_alu 0xfffe
	v_add_co_u32 v1, s33, s50, s54
	s_delay_alu instid0(VALU_DEP_1) | instskip(SKIP_1) | instid1(VALU_DEP_1)
	s_cmp_lg_u32 s33, 0
	s_add_co_ci_u32 s51, s51, s55
	v_readfirstlane_b32 s50, v1
	s_mov_b32 s55, s44
	s_wait_alu 0xfffe
	s_delay_alu instid0(VALU_DEP_1)
	s_mul_u64 s[52:53], s[52:53], s[50:51]
	s_wait_alu 0xfffe
	s_mul_hi_u32 s57, s50, s53
	s_mul_i32 s56, s50, s53
	s_mul_hi_u32 s48, s50, s52
	s_mul_i32 s45, s51, s52
	s_add_nc_u64 s[56:57], s[48:49], s[56:57]
	s_mul_hi_u32 s33, s51, s52
	s_mul_hi_u32 s50, s51, s53
	s_add_co_u32 s45, s56, s45
	s_wait_alu 0xfffe
	s_add_co_ci_u32 s54, s57, s33
	s_mul_i32 s52, s51, s53
	s_add_co_ci_u32 s53, s50, 0
	s_wait_alu 0xfffe
	s_add_nc_u64 s[52:53], s[54:55], s[52:53]
	s_wait_alu 0xfffe
	v_add_co_u32 v1, s33, v1, s52
	s_delay_alu instid0(VALU_DEP_1) | instskip(SKIP_1) | instid1(VALU_DEP_1)
	s_cmp_lg_u32 s33, 0
	s_add_co_ci_u32 s33, s51, s53
	v_readfirstlane_b32 s45, v1
	s_wait_alu 0xfffe
	s_mul_hi_u32 s51, s22, s33
	s_mul_i32 s50, s22, s33
	s_mul_hi_u32 s53, s23, s33
	s_mul_i32 s52, s23, s33
	;; [unrolled: 2-line block ×3, first 2 shown]
	s_wait_alu 0xfffe
	s_add_nc_u64 s[50:51], s[48:49], s[50:51]
	s_mul_hi_u32 s45, s23, s45
	s_wait_alu 0xfffe
	s_add_co_u32 s33, s50, s33
	s_add_co_ci_u32 s54, s51, s45
	s_add_co_ci_u32 s53, s53, 0
	s_wait_alu 0xfffe
	s_add_nc_u64 s[50:51], s[54:55], s[52:53]
	s_wait_alu 0xfffe
	s_mul_u64 s[52:53], s[46:47], s[50:51]
	s_add_nc_u64 s[54:55], s[50:51], 1
	s_wait_alu 0xfffe
	v_sub_co_u32 v1, s33, s22, s52
	s_sub_co_i32 s45, s23, s53
	s_cmp_lg_u32 s33, 0
	s_add_nc_u64 s[56:57], s[50:51], 2
	s_delay_alu instid0(VALU_DEP_1) | instskip(SKIP_2) | instid1(VALU_DEP_1)
	v_sub_co_u32 v2, s48, v1, s46
	s_sub_co_ci_u32 s45, s45, s47
	s_cmp_lg_u32 s48, 0
	v_readfirstlane_b32 s48, v2
	s_sub_co_ci_u32 s45, s45, 0
	s_delay_alu instid0(SALU_CYCLE_1) | instskip(SKIP_1) | instid1(VALU_DEP_1)
	s_cmp_ge_u32 s45, s47
	s_cselect_b32 s52, -1, 0
	s_cmp_ge_u32 s48, s46
	s_cselect_b32 s48, -1, 0
	s_cmp_eq_u32 s45, s47
	s_wait_alu 0xfffe
	s_cselect_b32 s45, s48, s52
	s_delay_alu instid0(SALU_CYCLE_1)
	s_cmp_lg_u32 s45, 0
	s_cselect_b32 s45, s56, s54
	s_cselect_b32 s48, s57, s55
	s_cmp_lg_u32 s33, 0
	v_readfirstlane_b32 s33, v1
	s_sub_co_ci_u32 s52, s23, s53
	s_wait_alu 0xfffe
	s_cmp_ge_u32 s52, s47
	s_cselect_b32 s53, -1, 0
	s_cmp_ge_u32 s33, s46
	s_cselect_b32 s33, -1, 0
	s_cmp_eq_u32 s52, s47
	s_wait_alu 0xfffe
	s_cselect_b32 s33, s33, s53
	s_wait_alu 0xfffe
	s_cmp_lg_u32 s33, 0
	s_cselect_b32 s51, s48, s51
	s_cselect_b32 s50, s45, s50
.LBB0_6:                                ;   in Loop: Header=BB0_4 Depth=1
	s_and_not1_b32 vcc_lo, exec_lo, s49
	s_cbranch_vccnz .LBB0_8
; %bb.7:                                ;   in Loop: Header=BB0_4 Depth=1
	v_cvt_f32_u32_e32 v1, s46
	s_sub_co_i32 s45, 0, s46
	s_mov_b32 s51, s44
	s_delay_alu instid0(VALU_DEP_1) | instskip(NEXT) | instid1(TRANS32_DEP_1)
	v_rcp_iflag_f32_e32 v1, v1
	v_mul_f32_e32 v1, 0x4f7ffffe, v1
	s_delay_alu instid0(VALU_DEP_1) | instskip(NEXT) | instid1(VALU_DEP_1)
	v_cvt_u32_f32_e32 v1, v1
	v_readfirstlane_b32 s33, v1
	s_delay_alu instid0(VALU_DEP_1) | instskip(NEXT) | instid1(SALU_CYCLE_1)
	s_mul_i32 s45, s45, s33
	s_mul_hi_u32 s45, s33, s45
	s_delay_alu instid0(SALU_CYCLE_1)
	s_add_co_i32 s33, s33, s45
	s_wait_alu 0xfffe
	s_mul_hi_u32 s33, s22, s33
	s_wait_alu 0xfffe
	s_mul_i32 s45, s33, s46
	s_add_co_i32 s48, s33, 1
	s_sub_co_i32 s45, s22, s45
	s_delay_alu instid0(SALU_CYCLE_1)
	s_sub_co_i32 s49, s45, s46
	s_cmp_ge_u32 s45, s46
	s_cselect_b32 s33, s48, s33
	s_cselect_b32 s45, s49, s45
	s_wait_alu 0xfffe
	s_add_co_i32 s48, s33, 1
	s_cmp_ge_u32 s45, s46
	s_cselect_b32 s50, s48, s33
.LBB0_8:                                ;   in Loop: Header=BB0_4 Depth=1
	s_load_b64 s[48:49], s[40:41], 0x0
	s_load_b64 s[52:53], s[38:39], 0x0
	s_add_nc_u64 s[42:43], s[42:43], 1
	s_mul_u64 s[36:37], s[46:47], s[36:37]
	s_wait_alu 0xfffe
	v_cmp_ge_u64_e64 s33, s[42:43], s[10:11]
	s_mul_u64 s[46:47], s[50:51], s[46:47]
	s_add_nc_u64 s[38:39], s[38:39], 8
	s_wait_alu 0xfffe
	s_sub_nc_u64 s[22:23], s[22:23], s[46:47]
	s_add_nc_u64 s[40:41], s[40:41], 8
	s_add_nc_u64 s[12:13], s[12:13], 8
	s_and_b32 vcc_lo, exec_lo, s33
	s_wait_kmcnt 0x0
	s_wait_alu 0xfffe
	s_mul_u64 s[46:47], s[48:49], s[22:23]
	s_mul_u64 s[22:23], s[52:53], s[22:23]
	s_wait_alu 0xfffe
	s_add_nc_u64 s[34:35], s[46:47], s[34:35]
	s_add_nc_u64 s[20:21], s[22:23], s[20:21]
	s_cbranch_vccnz .LBB0_10
; %bb.9:                                ;   in Loop: Header=BB0_4 Depth=1
	s_mov_b64 s[22:23], s[50:51]
	s_branch .LBB0_4
.LBB0_10:
	v_cmp_lt_u64_e64 s3, s[2:3], s[36:37]
	s_mov_b64 s[22:23], 0
	s_delay_alu instid0(VALU_DEP_1)
	s_and_b32 vcc_lo, exec_lo, s3
	s_cbranch_vccnz .LBB0_12
; %bb.11:
	v_cvt_f32_u32_e32 v1, s36
	s_sub_co_i32 s12, 0, s36
	s_mov_b32 s23, 0
	s_delay_alu instid0(VALU_DEP_1) | instskip(NEXT) | instid1(TRANS32_DEP_1)
	v_rcp_iflag_f32_e32 v1, v1
	v_mul_f32_e32 v1, 0x4f7ffffe, v1
	s_delay_alu instid0(VALU_DEP_1) | instskip(NEXT) | instid1(VALU_DEP_1)
	v_cvt_u32_f32_e32 v1, v1
	v_readfirstlane_b32 s3, v1
	s_delay_alu instid0(VALU_DEP_1) | instskip(NEXT) | instid1(SALU_CYCLE_1)
	s_mul_i32 s12, s12, s3
	s_mul_hi_u32 s12, s3, s12
	s_delay_alu instid0(SALU_CYCLE_1) | instskip(SKIP_4) | instid1(SALU_CYCLE_1)
	s_add_co_i32 s3, s3, s12
	s_wait_alu 0xfffe
	s_mul_hi_u32 s3, s2, s3
	s_wait_alu 0xfffe
	s_mul_i32 s12, s3, s36
	s_sub_co_i32 s2, s2, s12
	s_add_co_i32 s12, s3, 1
	s_wait_alu 0xfffe
	s_sub_co_i32 s13, s2, s36
	s_cmp_ge_u32 s2, s36
	s_cselect_b32 s3, s12, s3
	s_cselect_b32 s2, s13, s2
	s_wait_alu 0xfffe
	s_add_co_i32 s12, s3, 1
	s_cmp_ge_u32 s2, s36
	s_cselect_b32 s22, s12, s3
.LBB0_12:
	v_mul_u32_u24_e32 v1, 0x2493, v0
	s_load_b128 s[0:3], s[0:1], 0x60
	s_add_nc_u64 s[12:13], s[28:29], 7
	s_lshl_b64 s[10:11], s[10:11], 3
	v_cmp_le_u64_e64 s13, s[12:13], s[30:31]
	v_lshrrev_b32_e32 v88, 16, v1
	s_mov_b32 s12, 0
	s_delay_alu instid0(VALU_DEP_1)
	v_mul_lo_u16 v1, v88, 7
	v_lshlrev_b32_e32 v90, 4, v88
	v_add_nc_u32_e32 v87, 56, v88
	v_add_nc_u32_e32 v85, 0x70, v88
	;; [unrolled: 1-line block ×3, first 2 shown]
	v_sub_nc_u16 v1, v0, v1
	v_add_nc_u32_e32 v84, 0xe0, v88
	s_delay_alu instid0(VALU_DEP_2) | instskip(NEXT) | instid1(VALU_DEP_1)
	v_and_b32_e32 v89, 0xffff, v1
	v_add_co_u32 v1, s33, s28, v89
	s_wait_alu 0xf1ff
	v_add_co_ci_u32_e64 v2, null, s29, 0, s33
	v_mul_u32_u24_e32 v91, 0x1180, v89
	s_delay_alu instid0(VALU_DEP_2)
	v_cmp_gt_u64_e32 vcc_lo, s[30:31], v[1:2]
	s_or_b32 s30, s13, vcc_lo
	s_wait_alu 0xfffe
	s_and_saveexec_b32 s13, s30
	s_cbranch_execz .LBB0_14
; %bb.13:
	s_add_nc_u64 s[14:15], s[14:15], s[10:11]
	v_mad_co_u64_u32 v[1:2], null, s18, v89, 0
	s_load_b64 s[14:15], s[14:15], 0x0
	v_mad_co_u64_u32 v[3:4], null, s16, v88, 0
	v_mad_co_u64_u32 v[5:6], null, s16, v87, 0
	;; [unrolled: 1-line block ×3, first 2 shown]
	v_add3_u32 v21, 0, v91, v90
	s_delay_alu instid0(VALU_DEP_4) | instskip(NEXT) | instid1(VALU_DEP_4)
	v_mad_co_u64_u32 v[9:10], null, s19, v89, v[2:3]
	v_mad_co_u64_u32 v[10:11], null, s17, v88, v[4:5]
	v_mov_b32_e32 v4, v6
	v_mov_b32_e32 v6, v8
	s_lshl_b64 s[18:19], s[34:35], 4
	s_delay_alu instid0(VALU_DEP_4) | instskip(NEXT) | instid1(VALU_DEP_3)
	v_mov_b32_e32 v2, v9
	v_mad_co_u64_u32 v[8:9], null, s17, v87, v[4:5]
	s_wait_kmcnt 0x0
	s_mul_u64 s[14:15], s[14:15], s[22:23]
	v_mov_b32_e32 v4, v10
	s_lshl_b64 s[14:15], s[14:15], 4
	v_lshlrev_b64_e32 v[1:2], 4, v[1:2]
	v_mad_co_u64_u32 v[9:10], null, s16, v86, 0
	s_add_nc_u64 s[0:1], s[0:1], s[14:15]
	v_mad_co_u64_u32 v[11:12], null, s17, v85, v[6:7]
	s_wait_alu 0xfffe
	s_add_nc_u64 s[0:1], s[0:1], s[18:19]
	v_mad_co_u64_u32 v[12:13], null, s16, v84, 0
	v_add_co_u32 v18, vcc_lo, s0, v1
	v_add_co_ci_u32_e32 v19, vcc_lo, s1, v2, vcc_lo
	v_lshlrev_b64_e32 v[2:3], 4, v[3:4]
	v_dual_mov_b32 v1, v10 :: v_dual_mov_b32 v6, v8
	v_mov_b32_e32 v8, v11
	s_delay_alu instid0(VALU_DEP_2)
	v_mad_co_u64_u32 v[10:11], null, s17, v86, v[1:2]
	v_mov_b32_e32 v1, v13
	v_add_co_u32 v2, vcc_lo, v18, v2
	v_lshlrev_b64_e32 v[4:5], 4, v[5:6]
	v_lshlrev_b64_e32 v[6:7], 4, v[7:8]
	s_wait_alu 0xfffd
	v_add_co_ci_u32_e32 v3, vcc_lo, v19, v3, vcc_lo
	v_mad_co_u64_u32 v[13:14], null, s17, v84, v[1:2]
	s_delay_alu instid0(VALU_DEP_4)
	v_add_co_u32 v14, vcc_lo, v18, v4
	s_wait_alu 0xfffd
	v_add_co_ci_u32_e32 v15, vcc_lo, v19, v5, vcc_lo
	v_lshlrev_b64_e32 v[4:5], 4, v[9:10]
	v_add_co_u32 v9, vcc_lo, v18, v6
	s_wait_alu 0xfffd
	v_add_co_ci_u32_e32 v10, vcc_lo, v19, v7, vcc_lo
	v_lshlrev_b64_e32 v[6:7], 4, v[12:13]
	s_delay_alu instid0(VALU_DEP_4) | instskip(SKIP_2) | instid1(VALU_DEP_3)
	v_add_co_u32 v16, vcc_lo, v18, v4
	s_wait_alu 0xfffd
	v_add_co_ci_u32_e32 v17, vcc_lo, v19, v5, vcc_lo
	v_add_co_u32 v18, vcc_lo, v18, v6
	s_wait_alu 0xfffd
	v_add_co_ci_u32_e32 v19, vcc_lo, v19, v7, vcc_lo
	s_clause 0x4
	global_load_b128 v[1:4], v[2:3], off
	global_load_b128 v[5:8], v[14:15], off
	;; [unrolled: 1-line block ×5, first 2 shown]
	s_wait_loadcnt 0x4
	ds_store_b128 v21, v[1:4]
	s_wait_loadcnt 0x3
	ds_store_b128 v21, v[5:8] offset:896
	s_wait_loadcnt 0x2
	ds_store_b128 v21, v[9:12] offset:1792
	;; [unrolled: 2-line block ×4, first 2 shown]
.LBB0_14:
	s_wait_alu 0xfffe
	s_or_b32 exec_lo, exec_lo, s13
	s_wait_kmcnt 0x0
	s_mov_b32 s0, 0x92481000
	s_movk_i32 s1, 0x64
	s_mov_b32 s13, s12
	v_and_b32_e32 v1, 0xffff, v0
	s_wait_alu 0xfffe
	s_add_nc_u64 s[0:1], s[12:13], s[0:1]
	s_mov_b32 s19, s12
	s_wait_alu 0xfffe
	s_add_co_i32 s1, s1, 0x249248c0
	global_wb scope:SCOPE_SE
	s_wait_dscnt 0x0
	s_wait_alu 0xfffe
	s_mul_u64 s[14:15], s[0:1], -7
	v_mul_u32_u24_e32 v1, 0x493, v1
	s_mul_hi_u32 s17, s0, s15
	s_mul_i32 s16, s0, s15
	s_mul_hi_u32 s18, s0, s14
	s_mul_hi_u32 s13, s1, s14
	s_mul_i32 s14, s1, s14
	s_wait_alu 0xfffe
	s_add_nc_u64 s[16:17], s[18:19], s[16:17]
	s_mul_hi_u32 s18, s1, s15
	s_wait_alu 0xfffe
	s_add_co_u32 s14, s16, s14
	s_add_co_ci_u32 s14, s17, s13
	s_add_co_ci_u32 s17, s18, 0
	s_mul_i32 s16, s1, s15
	s_mov_b32 s15, s12
	v_lshrrev_b32_e32 v5, 16, v1
	s_wait_alu 0xfffe
	s_add_nc_u64 s[12:13], s[14:15], s[16:17]
	s_barrier_signal -1
	s_wait_alu 0xfffe
	v_add_co_u32 v3, s0, s0, s12
	s_delay_alu instid0(VALU_DEP_1) | instskip(SKIP_4) | instid1(VALU_DEP_2)
	s_cmp_lg_u32 s0, 0
	v_add_co_u32 v36, s0, s28, v5
	s_wait_alu 0xf1ff
	v_add_co_ci_u32_e64 v6, null, s29, 0, s0
	s_add_co_ci_u32 s0, s1, s13
	v_mul_hi_u32 v7, v36, v3
	s_wait_alu 0xfffe
	v_mad_co_u64_u32 v[1:2], null, v36, s0, 0
	v_mad_co_u64_u32 v[3:4], null, v6, v3, 0
	v_mul_lo_u16 v5, v5, 56
	s_barrier_wait -1
	global_inv scope:SCOPE_SE
	s_mov_b32 s12, 0x667f3bcd
	v_add_co_u32 v7, vcc_lo, v7, v1
	s_wait_alu 0xfffd
	v_add_co_ci_u32_e32 v8, vcc_lo, 0, v2, vcc_lo
	v_mad_co_u64_u32 v[1:2], null, v6, s0, 0
	s_delay_alu instid0(VALU_DEP_3) | instskip(SKIP_1) | instid1(VALU_DEP_3)
	v_add_co_u32 v3, vcc_lo, v7, v3
	s_wait_alu 0xfffd
	v_add_co_ci_u32_e32 v3, vcc_lo, v8, v4, vcc_lo
	v_sub_nc_u16 v50, v0, v5
	s_mov_b32 s13, 0xbfe6a09e
	s_wait_alu 0xfffd
	s_delay_alu instid0(VALU_DEP_4) | instskip(SKIP_3) | instid1(VALU_DEP_2)
	v_add_co_ci_u32_e32 v2, vcc_lo, 0, v2, vcc_lo
	v_add_co_u32 v1, vcc_lo, v3, v1
	s_mov_b32 s15, 0x3fe6a09e
	s_wait_alu 0xfffd
	v_add_co_ci_u32_e32 v3, vcc_lo, 0, v2, vcc_lo
	s_delay_alu instid0(VALU_DEP_2)
	v_mad_co_u64_u32 v[1:2], null, v1, 7, 0
	s_wait_alu 0xfffe
	s_mov_b32 s14, s12
	s_add_nc_u64 s[0:1], s[26:27], s[10:11]
	s_mov_b32 s10, exec_lo
	v_and_b32_e32 v37, 0xffff, v50
	s_delay_alu instid0(VALU_DEP_2) | instskip(NEXT) | instid1(VALU_DEP_3)
	v_mad_co_u64_u32 v[2:3], null, v3, 7, v[2:3]
	v_sub_co_u32 v1, vcc_lo, v36, v1
	s_wait_alu 0xfffd
	s_delay_alu instid0(VALU_DEP_2) | instskip(NEXT) | instid1(VALU_DEP_2)
	v_sub_co_ci_u32_e32 v2, vcc_lo, v6, v2, vcc_lo
	v_sub_co_u32 v3, vcc_lo, v1, 7
	s_wait_alu 0xfffd
	s_delay_alu instid0(VALU_DEP_2) | instskip(NEXT) | instid1(VALU_DEP_2)
	v_subrev_co_ci_u32_e32 v4, vcc_lo, 0, v2, vcc_lo
	v_cmp_lt_u32_e32 vcc_lo, 6, v3
	s_wait_alu 0xfffd
	v_cndmask_b32_e64 v6, 0, -1, vcc_lo
	v_cmp_lt_u32_e32 vcc_lo, 6, v1
	s_wait_alu 0xfffd
	v_cndmask_b32_e64 v7, 0, -1, vcc_lo
	v_cmp_eq_u32_e32 vcc_lo, 0, v4
	s_wait_alu 0xfffd
	v_cndmask_b32_e32 v4, -1, v6, vcc_lo
	v_cmp_eq_u32_e32 vcc_lo, 0, v2
	v_add_nc_u32_e32 v6, -7, v3
	s_wait_alu 0xfffd
	v_cndmask_b32_e32 v0, -1, v7, vcc_lo
	v_cmp_ne_u32_e32 vcc_lo, 0, v4
	s_wait_alu 0xfffd
	v_cndmask_b32_e32 v2, v3, v6, vcc_lo
	s_delay_alu instid0(VALU_DEP_3) | instskip(SKIP_1) | instid1(VALU_DEP_2)
	v_cmp_ne_u32_e32 vcc_lo, 0, v0
	s_wait_alu 0xfffd
	v_dual_cndmask_b32 v0, v1, v2 :: v_dual_lshlrev_b32 v1, 4, v37
	s_delay_alu instid0(VALU_DEP_1) | instskip(NEXT) | instid1(VALU_DEP_2)
	v_add_nc_u32_e32 v39, 0, v1
	v_mul_u32_u24_e32 v0, 0x118, v0
	s_delay_alu instid0(VALU_DEP_1) | instskip(NEXT) | instid1(VALU_DEP_1)
	v_lshlrev_b32_e32 v38, 4, v0
	v_add_nc_u32_e32 v92, v39, v38
	v_add3_u32 v93, 0, v38, v1
	ds_load_b128 v[0:3], v92 offset:2240
	ds_load_b128 v[4:7], v93
	ds_load_b128 v[22:25], v92 offset:1120
	ds_load_b128 v[8:11], v92 offset:3360
	ds_load_b128 v[30:33], v92 offset:560
	ds_load_b128 v[12:15], v92 offset:2800
	ds_load_b128 v[40:43], v92 offset:1680
	ds_load_b128 v[16:19], v92 offset:3920
	global_wb scope:SCOPE_SE
	s_wait_dscnt 0x0
	s_barrier_signal -1
	s_barrier_wait -1
	global_inv scope:SCOPE_SE
	v_add_f64_e64 v[0:1], v[4:5], -v[0:1]
	v_add_f64_e64 v[2:3], v[6:7], -v[2:3]
	;; [unrolled: 1-line block ×8, first 2 shown]
	v_fma_f64 v[20:21], v[4:5], 2.0, -v[0:1]
	v_fma_f64 v[28:29], v[6:7], 2.0, -v[2:3]
	v_add_f64_e64 v[10:11], v[2:3], -v[26:27]
	v_add_f64_e32 v[8:9], v[0:1], v[34:35]
	v_fma_f64 v[4:5], v[22:23], 2.0, -v[26:27]
	v_fma_f64 v[6:7], v[24:25], 2.0, -v[34:35]
	v_add_f64_e32 v[14:15], v[44:45], v[12:13]
	v_add_f64_e64 v[16:17], v[46:47], -v[48:49]
	v_fma_f64 v[22:23], v[30:31], 2.0, -v[44:45]
	v_fma_f64 v[30:31], v[32:33], 2.0, -v[46:47]
	;; [unrolled: 1-line block ×6, first 2 shown]
	v_add_f64_e64 v[24:25], v[20:21], -v[4:5]
	v_add_f64_e64 v[26:27], v[28:29], -v[6:7]
	v_fma_f64 v[2:3], v[44:45], 2.0, -v[14:15]
	v_fma_f64 v[0:1], v[46:47], 2.0, -v[16:17]
	v_add_f64_e64 v[34:35], v[30:31], -v[32:33]
	v_add_f64_e64 v[32:33], v[22:23], -v[40:41]
	s_delay_alu instid0(VALU_DEP_4) | instskip(NEXT) | instid1(VALU_DEP_4)
	v_fma_f64 v[6:7], v[2:3], s[12:13], v[12:13]
	v_fma_f64 v[42:43], v[0:1], s[12:13], v[18:19]
	s_delay_alu instid0(VALU_DEP_4) | instskip(NEXT) | instid1(VALU_DEP_3)
	v_add_f64_e32 v[4:5], v[24:25], v[34:35]
	v_fma_f64 v[0:1], v[0:1], s[14:15], v[6:7]
	s_delay_alu instid0(VALU_DEP_3)
	v_fma_f64 v[2:3], v[2:3], s[12:13], v[42:43]
	v_add_f64_e64 v[6:7], v[26:27], -v[32:33]
	v_cmpx_gt_u16_e32 35, v50
	s_cbranch_execz .LBB0_16
; %bb.15:
	v_fma_f64 v[40:41], v[28:29], 2.0, -v[26:27]
	v_fma_f64 v[28:29], v[30:31], 2.0, -v[34:35]
	;; [unrolled: 1-line block ×4, first 2 shown]
	v_fma_f64 v[30:31], v[16:17], s[14:15], v[10:11]
	v_fma_f64 v[32:33], v[14:15], s[14:15], v[8:9]
	v_add_f64_e64 v[22:23], v[40:41], -v[28:29]
	s_delay_alu instid0(VALU_DEP_4) | instskip(NEXT) | instid1(VALU_DEP_4)
	v_add_f64_e64 v[20:21], v[42:43], -v[20:21]
	v_fma_f64 v[30:31], v[14:15], s[12:13], v[30:31]
	s_delay_alu instid0(VALU_DEP_4)
	v_fma_f64 v[28:29], v[16:17], s[14:15], v[32:33]
	v_fma_f64 v[16:17], v[26:27], 2.0, -v[6:7]
	v_fma_f64 v[14:15], v[24:25], 2.0, -v[4:5]
	;; [unrolled: 1-line block ×4, first 2 shown]
	v_mul_u32_u24_e32 v12, 0x70, v37
	s_delay_alu instid0(VALU_DEP_1)
	v_add3_u32 v12, v39, v12, v38
	v_fma_f64 v[34:35], v[40:41], 2.0, -v[22:23]
	v_fma_f64 v[32:33], v[42:43], 2.0, -v[20:21]
	;; [unrolled: 1-line block ×4, first 2 shown]
	ds_store_b128 v12, v[20:23] offset:64
	ds_store_b128 v12, v[0:3] offset:80
	ds_store_b128 v12, v[32:35]
	ds_store_b128 v12, v[24:27] offset:16
	ds_store_b128 v12, v[14:17] offset:32
	;; [unrolled: 1-line block ×5, first 2 shown]
.LBB0_16:
	s_wait_alu 0xfffe
	s_or_b32 exec_lo, exec_lo, s10
	v_and_b32_e32 v63, 7, v37
	s_load_b64 s[0:1], s[0:1], 0x0
	global_wb scope:SCOPE_SE
	s_wait_dscnt 0x0
	s_wait_kmcnt 0x0
	s_barrier_signal -1
	s_barrier_wait -1
	v_lshlrev_b32_e32 v20, 6, v63
	global_inv scope:SCOPE_SE
	s_mov_b32 s10, 0x134454ff
	s_mov_b32 s11, 0xbfee6f0e
	;; [unrolled: 1-line block ×3, first 2 shown]
	s_clause 0x3
	global_load_b128 v[8:11], v20, s[24:25]
	global_load_b128 v[12:15], v20, s[24:25] offset:16
	global_load_b128 v[16:19], v20, s[24:25] offset:32
	;; [unrolled: 1-line block ×3, first 2 shown]
	ds_load_b128 v[24:27], v92 offset:896
	ds_load_b128 v[28:31], v92 offset:1792
	;; [unrolled: 1-line block ×4, first 2 shown]
	s_wait_alu 0xfffe
	s_mov_b32 s12, s10
	v_cmp_gt_u16_e32 vcc_lo, 40, v37
	s_wait_loadcnt_dscnt 0x303
	v_mul_f64_e32 v[43:44], v[26:27], v[10:11]
	s_wait_loadcnt_dscnt 0x202
	v_mul_f64_e32 v[45:46], v[30:31], v[14:15]
	;; [unrolled: 2-line block ×3, first 2 shown]
	v_mul_f64_e32 v[10:11], v[24:25], v[10:11]
	s_wait_loadcnt_dscnt 0x0
	v_mul_f64_e32 v[49:50], v[41:42], v[22:23]
	v_mul_f64_e32 v[14:15], v[28:29], v[14:15]
	;; [unrolled: 1-line block ×4, first 2 shown]
	v_fma_f64 v[24:25], v[24:25], v[8:9], v[43:44]
	v_fma_f64 v[28:29], v[28:29], v[12:13], v[45:46]
	;; [unrolled: 1-line block ×3, first 2 shown]
	v_fma_f64 v[26:27], v[26:27], v[8:9], -v[10:11]
	v_fma_f64 v[39:40], v[39:40], v[20:21], v[49:50]
	v_fma_f64 v[12:13], v[30:31], v[12:13], -v[14:15]
	v_fma_f64 v[14:15], v[34:35], v[16:17], -v[18:19]
	;; [unrolled: 1-line block ×3, first 2 shown]
	ds_load_b128 v[8:11], v93
	global_wb scope:SCOPE_SE
	s_wait_dscnt 0x0
	s_barrier_signal -1
	s_barrier_wait -1
	global_inv scope:SCOPE_SE
	v_add_f64_e32 v[34:35], v[8:9], v[24:25]
	v_add_f64_e32 v[18:19], v[28:29], v[32:33]
	v_add_f64_e32 v[45:46], v[10:11], v[26:27]
	v_add_f64_e32 v[20:21], v[24:25], v[39:40]
	v_add_f64_e64 v[47:48], v[24:25], -v[39:40]
	v_add_f64_e32 v[22:23], v[12:13], v[14:15]
	v_add_f64_e32 v[30:31], v[26:27], v[16:17]
	v_add_f64_e64 v[41:42], v[26:27], -v[16:17]
	v_add_f64_e64 v[43:44], v[12:13], -v[14:15]
	;; [unrolled: 1-line block ×8, first 2 shown]
	v_fma_f64 v[18:19], v[18:19], -0.5, v[8:9]
	v_add_f64_e32 v[12:13], v[45:46], v[12:13]
	v_fma_f64 v[8:9], v[20:21], -0.5, v[8:9]
	v_add_f64_e64 v[20:21], v[28:29], -v[32:33]
	v_fma_f64 v[22:23], v[22:23], -0.5, v[10:11]
	v_fma_f64 v[10:11], v[30:31], -0.5, v[10:11]
	v_add_f64_e64 v[30:31], v[24:25], -v[28:29]
	v_add_f64_e64 v[24:25], v[28:29], -v[24:25]
	v_add_f64_e32 v[28:29], v[34:35], v[28:29]
	v_add_f64_e32 v[26:27], v[26:27], v[57:58]
	v_fma_f64 v[34:35], v[41:42], s[10:11], v[18:19]
	s_wait_alu 0xfffe
	v_fma_f64 v[18:19], v[41:42], s[12:13], v[18:19]
	v_fma_f64 v[45:46], v[43:44], s[12:13], v[8:9]
	;; [unrolled: 1-line block ×7, first 2 shown]
	s_mov_b32 s10, 0x4755a5e
	s_mov_b32 s11, 0xbfe2cf23
	;; [unrolled: 1-line block ×3, first 2 shown]
	s_wait_alu 0xfffe
	s_mov_b32 s12, s10
	v_add_f64_e32 v[30:31], v[30:31], v[49:50]
	v_add_f64_e32 v[24:25], v[24:25], v[51:52]
	;; [unrolled: 1-line block ×5, first 2 shown]
	v_fma_f64 v[14:15], v[43:44], s[10:11], v[34:35]
	s_wait_alu 0xfffe
	v_fma_f64 v[18:19], v[43:44], s[12:13], v[18:19]
	v_fma_f64 v[32:33], v[41:42], s[10:11], v[45:46]
	;; [unrolled: 1-line block ×7, first 2 shown]
	s_mov_b32 s10, 0x372fe950
	s_mov_b32 s11, 0x3fd3c6ef
	v_add_f64_e32 v[8:9], v[28:29], v[39:40]
	v_add_f64_e32 v[10:11], v[12:13], v[16:17]
	v_lshrrev_b32_e32 v12, 3, v37
	s_delay_alu instid0(VALU_DEP_1) | instskip(NEXT) | instid1(VALU_DEP_1)
	v_mul_u32_u24_e32 v12, 40, v12
	v_or_b32_e32 v12, v12, v63
	s_delay_alu instid0(VALU_DEP_1) | instskip(NEXT) | instid1(VALU_DEP_1)
	v_lshlrev_b32_e32 v12, 4, v12
	v_add3_u32 v12, 0, v12, v38
	s_wait_alu 0xfffe
	v_fma_f64 v[68:69], v[30:31], s[10:11], v[14:15]
	v_fma_f64 v[76:77], v[30:31], s[10:11], v[18:19]
	;; [unrolled: 1-line block ×8, first 2 shown]
	ds_store_b128 v12, v[8:11]
	ds_store_b128 v12, v[68:71] offset:128
	ds_store_b128 v12, v[80:83] offset:256
	ds_store_b128 v12, v[72:75] offset:384
	ds_store_b128 v12, v[76:79] offset:512
	global_wb scope:SCOPE_SE
	s_wait_dscnt 0x0
	s_barrier_signal -1
	s_barrier_wait -1
	global_inv scope:SCOPE_SE
	s_and_saveexec_b32 s10, vcc_lo
	s_cbranch_execz .LBB0_18
; %bb.17:
	ds_load_b128 v[8:11], v93
	ds_load_b128 v[68:71], v92 offset:640
	ds_load_b128 v[80:83], v92 offset:1280
	;; [unrolled: 1-line block ×6, first 2 shown]
.LBB0_18:
	s_wait_alu 0xfffe
	s_or_b32 exec_lo, exec_lo, s10
	v_subrev_nc_u32_e32 v12, 40, v37
	s_delay_alu instid0(VALU_DEP_1) | instskip(NEXT) | instid1(VALU_DEP_1)
	v_cndmask_b32_e32 v94, v12, v37, vcc_lo
	v_mul_lo_u32 v12, v36, v94
	s_delay_alu instid0(VALU_DEP_1)
	v_and_b32_e32 v17, 0xff, v12
	v_add_nc_u32_e32 v13, 40, v94
	v_add_nc_u32_e32 v14, 0x50, v94
	;; [unrolled: 1-line block ×6, first 2 shown]
	v_mul_lo_u32 v13, v36, v13
	v_mul_lo_u32 v14, v36, v14
	;; [unrolled: 1-line block ×6, first 2 shown]
	v_lshrrev_b32_e32 v12, 4, v12
	v_lshlrev_b32_e32 v16, 4, v17
	v_and_b32_e32 v20, 0xff, v13
	v_and_b32_e32 v22, 0xff, v14
	;; [unrolled: 1-line block ×3, first 2 shown]
	v_lshrrev_b32_e32 v21, 4, v13
	v_lshrrev_b32_e32 v23, 4, v14
	;; [unrolled: 1-line block ×3, first 2 shown]
	v_and_b32_e32 v24, 0xff, v15
	v_and_b32_e32 v48, 0xff, v46
	v_lshrrev_b32_e32 v25, 4, v15
	v_lshrrev_b32_e32 v46, 4, v46
	v_and_b32_e32 v49, 0xff, v47
	v_lshrrev_b32_e32 v47, 4, v47
	v_lshlrev_b32_e32 v20, 4, v20
	v_lshlrev_b32_e32 v30, 4, v22
	;; [unrolled: 1-line block ×3, first 2 shown]
	v_and_b32_e32 v17, 0xff0, v12
	v_and_b32_e32 v26, 0xff0, v21
	;; [unrolled: 1-line block ×4, first 2 shown]
	v_lshlrev_b32_e32 v37, 4, v24
	v_lshlrev_b32_e32 v52, 4, v48
	v_and_b32_e32 v40, 0xff0, v25
	v_and_b32_e32 v56, 0xff0, v46
	v_lshlrev_b32_e32 v60, 4, v49
	v_and_b32_e32 v64, 0xff0, v47
	s_clause 0xd
	global_load_b128 v[12:15], v16, s[8:9]
	global_load_b128 v[16:19], v17, s[8:9] offset:4096
	global_load_b128 v[20:23], v20, s[8:9]
	global_load_b128 v[24:27], v26, s[8:9] offset:4096
	;; [unrolled: 2-line block ×7, first 2 shown]
	global_wb scope:SCOPE_SE
	s_wait_loadcnt_dscnt 0x0
	s_barrier_signal -1
	s_barrier_wait -1
	global_inv scope:SCOPE_SE
	s_and_saveexec_b32 s8, vcc_lo
	s_cbranch_execz .LBB0_20
; %bb.19:
	v_mul_i32_i24_e32 v94, 6, v94
	v_mov_b32_e32 v95, 0
	s_mov_b32 s10, 0xe976ee23
	s_mov_b32 s11, 0x3fe11646
	;; [unrolled: 1-line block ×4, first 2 shown]
	v_lshlrev_b64_e32 v[94:95], 4, v[94:95]
	s_mov_b32 s14, 0x36b3c0b5
	s_mov_b32 s15, 0x3fac98ee
	;; [unrolled: 1-line block ×5, first 2 shown]
	v_add_co_u32 v114, vcc_lo, s24, v94
	s_wait_alu 0xfffd
	v_add_co_ci_u32_e32 v115, vcc_lo, s25, v95, vcc_lo
	s_mov_b32 s19, 0xbff2aaaa
	s_clause 0x5
	global_load_b128 v[94:97], v[114:115], off offset:528
	global_load_b128 v[98:101], v[114:115], off offset:576
	;; [unrolled: 1-line block ×6, first 2 shown]
	s_wait_loadcnt 0x5
	v_mul_f64_e32 v[118:119], v[82:83], v[96:97]
	v_mul_f64_e32 v[96:97], v[80:81], v[96:97]
	s_wait_loadcnt 0x4
	v_mul_f64_e32 v[120:121], v[2:3], v[100:101]
	s_delay_alu instid0(VALU_DEP_3) | instskip(NEXT) | instid1(VALU_DEP_3)
	v_fma_f64 v[80:81], v[80:81], v[94:95], v[118:119]
	v_fma_f64 v[82:83], v[82:83], v[94:95], -v[96:97]
	v_mul_f64_e32 v[94:95], v[0:1], v[100:101]
	s_wait_loadcnt 0x3
	v_mul_f64_e32 v[96:97], v[70:71], v[104:105]
	v_mul_f64_e32 v[100:101], v[68:69], v[104:105]
	s_wait_loadcnt 0x2
	v_mul_f64_e32 v[104:105], v[4:5], v[108:109]
	v_fma_f64 v[0:1], v[0:1], v[98:99], v[120:121]
	v_fma_f64 v[2:3], v[2:3], v[98:99], -v[94:95]
	v_mul_f64_e32 v[94:95], v[6:7], v[108:109]
	s_wait_loadcnt 0x1
	v_mul_f64_e32 v[98:99], v[74:75], v[112:113]
	v_mul_f64_e32 v[108:109], v[72:73], v[112:113]
	s_wait_loadcnt 0x0
	v_mul_f64_e32 v[112:113], v[78:79], v[116:117]
	v_fma_f64 v[68:69], v[68:69], v[102:103], v[96:97]
	v_mul_f64_e32 v[96:97], v[76:77], v[116:117]
	v_fma_f64 v[70:71], v[70:71], v[102:103], -v[100:101]
	v_fma_f64 v[6:7], v[6:7], v[106:107], -v[104:105]
	v_fma_f64 v[4:5], v[4:5], v[106:107], v[94:95]
	v_fma_f64 v[72:73], v[72:73], v[110:111], v[98:99]
	v_fma_f64 v[74:75], v[74:75], v[110:111], -v[108:109]
	v_fma_f64 v[76:77], v[76:77], v[114:115], v[112:113]
	v_add_f64_e32 v[94:95], v[82:83], v[2:3]
	v_fma_f64 v[78:79], v[78:79], v[114:115], -v[96:97]
	v_add_f64_e32 v[98:99], v[80:81], v[0:1]
	v_add_f64_e32 v[96:97], v[70:71], v[6:7]
	v_add_f64_e64 v[0:1], v[80:81], -v[0:1]
	v_add_f64_e64 v[2:3], v[82:83], -v[2:3]
	;; [unrolled: 1-line block ×3, first 2 shown]
	v_add_f64_e32 v[100:101], v[68:69], v[4:5]
	v_add_f64_e64 v[4:5], v[68:69], -v[4:5]
	v_add_f64_e64 v[80:81], v[76:77], -v[72:73]
	v_add_f64_e32 v[72:73], v[72:73], v[76:77]
	v_add_f64_e64 v[102:103], v[78:79], -v[74:75]
	v_add_f64_e32 v[74:75], v[74:75], v[78:79]
	v_add_f64_e32 v[76:77], v[94:95], v[96:97]
	v_add_f64_e64 v[108:109], v[2:3], -v[6:7]
	v_add_f64_e32 v[78:79], v[98:99], v[100:101]
	v_add_f64_e64 v[68:69], v[80:81], -v[0:1]
	v_add_f64_e64 v[104:105], v[100:101], -v[72:73]
	;; [unrolled: 1-line block ×5, first 2 shown]
	v_add_f64_e32 v[74:75], v[74:75], v[76:77]
	v_add_f64_e64 v[76:77], v[72:73], -v[98:99]
	v_add_f64_e64 v[94:95], v[94:95], -v[96:97]
	v_add_f64_e32 v[2:3], v[102:103], v[2:3]
	v_add_f64_e64 v[96:97], v[6:7], -v[102:103]
	v_add_f64_e64 v[98:99], v[98:99], -v[100:101]
	v_add_f64_e32 v[72:73], v[72:73], v[78:79]
	v_add_f64_e64 v[78:79], v[0:1], -v[4:5]
	v_add_f64_e32 v[0:1], v[80:81], v[0:1]
	s_wait_alu 0xfffe
	v_mul_f64_e32 v[68:69], s[10:11], v[68:69]
	v_add_f64_e64 v[80:81], v[4:5], -v[80:81]
	v_mul_f64_e32 v[70:71], s[10:11], v[70:71]
	s_mov_b32 s10, 0x429ad128
	v_mul_f64_e32 v[82:83], s[12:13], v[82:83]
	v_mul_f64_e32 v[100:101], s[12:13], v[104:105]
	s_mov_b32 s11, 0xbfebfeb5
	v_mul_f64_e32 v[102:103], s[14:15], v[106:107]
	v_add_f64_e32 v[10:11], v[10:11], v[74:75]
	v_mul_f64_e32 v[104:105], s[14:15], v[76:77]
	s_wait_alu 0xfffe
	v_mul_f64_e32 v[112:113], s[10:11], v[108:109]
	s_mov_b32 s13, 0xbfd5d0dc
	s_mov_b32 s12, 0xb247c609
	v_add_f64_e32 v[2:3], v[2:3], v[6:7]
	v_add_f64_e32 v[8:9], v[8:9], v[72:73]
	v_mul_f64_e32 v[110:111], s[10:11], v[78:79]
	v_add_f64_e32 v[0:1], v[0:1], v[4:5]
	v_fma_f64 v[4:5], v[78:79], s[10:11], -v[68:69]
	s_wait_alu 0xfffe
	v_fma_f64 v[6:7], v[80:81], s[12:13], v[68:69]
	v_fma_f64 v[68:69], v[96:97], s[12:13], v[70:71]
	s_mov_b32 s13, 0x3fd5d0dc
	v_fma_f64 v[78:79], v[94:95], s[16:17], -v[82:83]
	v_fma_f64 v[114:115], v[98:99], s[16:17], -v[100:101]
	s_mov_b32 s17, 0x3fe77f67
	v_fma_f64 v[70:71], v[108:109], s[10:11], -v[70:71]
	s_wait_alu 0xfffe
	v_fma_f64 v[94:95], v[94:95], s[16:17], -v[102:103]
	v_fma_f64 v[74:75], v[74:75], s[18:19], v[10:11]
	v_fma_f64 v[98:99], v[98:99], s[16:17], -v[104:105]
	v_fma_f64 v[96:97], v[96:97], s[12:13], -v[112:113]
	v_fma_f64 v[76:77], v[76:77], s[14:15], v[100:101]
	v_fma_f64 v[82:83], v[106:107], s[14:15], v[82:83]
	s_mov_b32 s10, 0x37c3f68c
	s_mov_b32 s11, 0xbfdc38aa
	v_mul_f64_e32 v[104:105], v[12:13], v[18:19]
	v_mul_f64_e32 v[100:101], v[60:61], v[66:67]
	;; [unrolled: 1-line block ×8, first 2 shown]
	v_fma_f64 v[72:73], v[72:73], s[18:19], v[8:9]
	v_fma_f64 v[80:81], v[80:81], s[12:13], -v[110:111]
	v_mul_f64_e32 v[110:111], v[20:21], v[26:27]
	s_wait_alu 0xfffe
	v_fma_f64 v[4:5], v[0:1], s[10:11], v[4:5]
	v_mul_f64_e32 v[26:27], v[22:23], v[26:27]
	v_fma_f64 v[70:71], v[2:3], s[10:11], v[70:71]
	v_add_f64_e32 v[94:95], v[94:95], v[74:75]
	v_add_f64_e32 v[78:79], v[78:79], v[74:75]
	v_fma_f64 v[96:97], v[2:3], s[10:11], v[96:97]
	v_fma_f64 v[2:3], v[2:3], s[10:11], v[68:69]
	;; [unrolled: 1-line block ×6, first 2 shown]
	v_fma_f64 v[60:61], v[60:61], v[64:65], -v[66:67]
	v_fma_f64 v[28:29], v[28:29], v[32:33], -v[34:35]
	;; [unrolled: 1-line block ×3, first 2 shown]
	v_add_f64_e32 v[98:99], v[98:99], v[72:73]
	v_fma_f64 v[80:81], v[0:1], s[10:11], v[80:81]
	v_add_f64_e32 v[106:107], v[114:115], v[72:73]
	v_add_f64_e32 v[68:69], v[76:77], v[72:73]
	v_mul_f64_e32 v[72:73], v[44:45], v[50:51]
	v_mul_f64_e32 v[76:77], v[36:37], v[42:43]
	v_fma_f64 v[0:1], v[0:1], s[10:11], v[6:7]
	v_add_f64_e32 v[6:7], v[82:83], v[74:75]
	v_mul_f64_e32 v[50:51], v[46:47], v[50:51]
	v_mul_f64_e32 v[42:43], v[38:39], v[42:43]
	v_fma_f64 v[22:23], v[22:23], v[24:25], v[110:111]
	v_fma_f64 v[20:21], v[20:21], v[24:25], -v[26:27]
	v_add_f64_e64 v[74:75], v[94:95], -v[4:5]
	v_add_f64_e32 v[4:5], v[4:5], v[94:95]
	v_add_f64_e32 v[82:83], v[70:71], v[98:99]
	v_add_f64_e64 v[70:71], v[98:99], -v[70:71]
	v_add_f64_e32 v[94:95], v[80:81], v[78:79]
	v_add_f64_e64 v[78:79], v[78:79], -v[80:81]
	v_add_f64_e64 v[80:81], v[106:107], -v[96:97]
	v_add_f64_e32 v[96:97], v[96:97], v[106:107]
	v_add_f64_e64 v[98:99], v[68:69], -v[2:3]
	v_fma_f64 v[46:47], v[46:47], v[48:49], v[72:73]
	v_fma_f64 v[38:39], v[38:39], v[40:41], v[76:77]
	v_add_f64_e32 v[68:69], v[2:3], v[68:69]
	v_add_f64_e64 v[72:73], v[6:7], -v[0:1]
	v_add_f64_e32 v[6:7], v[0:1], v[6:7]
	v_fma_f64 v[0:1], v[12:13], v[16:17], -v[18:19]
	v_mul_f64_e32 v[2:3], v[8:9], v[14:15]
	v_mul_f64_e32 v[12:13], v[10:11], v[14:15]
	v_fma_f64 v[44:45], v[44:45], v[48:49], -v[50:51]
	v_fma_f64 v[36:37], v[36:37], v[40:41], -v[42:43]
	v_mul_f64_e32 v[42:43], v[94:95], v[54:55]
	v_mul_f64_e32 v[16:17], v[80:81], v[54:55]
	;; [unrolled: 1-line block ×12, first 2 shown]
	v_fma_f64 v[2:3], v[10:11], v[0:1], -v[2:3]
	v_fma_f64 v[0:1], v[8:9], v[0:1], v[12:13]
	v_fma_f64 v[8:9], v[80:81], v[52:53], v[42:43]
	v_fma_f64 v[10:11], v[94:95], v[52:53], -v[16:17]
	v_fma_f64 v[22:23], v[78:79], v[28:29], -v[26:27]
	;; [unrolled: 1-line block ×6, first 2 shown]
	v_fma_f64 v[24:25], v[68:69], v[20:21], v[34:35]
	v_fma_f64 v[20:21], v[96:97], v[28:29], v[30:31]
	;; [unrolled: 1-line block ×5, first 2 shown]
	ds_store_b128 v93, v[0:3]
	ds_store_b128 v92, v[24:27] offset:640
	ds_store_b128 v92, v[20:23] offset:1280
	;; [unrolled: 1-line block ×6, first 2 shown]
.LBB0_20:
	s_wait_alu 0xfffe
	s_or_b32 exec_lo, exec_lo, s8
	global_wb scope:SCOPE_SE
	s_wait_dscnt 0x0
	s_barrier_signal -1
	s_barrier_wait -1
	global_inv scope:SCOPE_SE
	s_and_saveexec_b32 s8, s30
	s_cbranch_execz .LBB0_22
; %bb.21:
	v_mad_co_u64_u32 v[4:5], null, s6, v89, 0
	v_mad_co_u64_u32 v[6:7], null, s4, v88, 0
	v_add3_u32 v26, 0, v91, v90
	v_mad_co_u64_u32 v[10:11], null, s4, v85, 0
	s_mul_u64 s[0:1], s[0:1], s[22:23]
	s_delay_alu instid0(VALU_DEP_4) | instskip(SKIP_2) | instid1(VALU_DEP_4)
	v_mov_b32_e32 v0, v5
	s_wait_alu 0xfffe
	s_lshl_b64 s[0:1], s[0:1], 4
	v_mov_b32_e32 v1, v7
	s_wait_alu 0xfffe
	s_add_nc_u64 s[0:1], s[2:3], s[0:1]
	v_mad_co_u64_u32 v[15:16], null, s4, v86, 0
	v_mad_co_u64_u32 v[17:18], null, s4, v84, 0
	;; [unrolled: 1-line block ×3, first 2 shown]
	s_lshl_b64 s[6:7], s[20:21], 4
	s_wait_alu 0xfffe
	s_add_nc_u64 s[0:1], s[0:1], s[6:7]
	s_delay_alu instid0(VALU_DEP_1)
	v_mov_b32_e32 v5, v2
	v_mad_co_u64_u32 v[7:8], null, s5, v88, v[1:2]
	ds_load_b128 v[0:3], v26
	v_mad_co_u64_u32 v[8:9], null, s4, v87, 0
	v_lshlrev_b64_e32 v[4:5], 4, v[4:5]
	v_lshlrev_b64_e32 v[6:7], 4, v[6:7]
	s_wait_alu 0xfffe
	s_delay_alu instid0(VALU_DEP_2) | instskip(NEXT) | instid1(VALU_DEP_4)
	v_add_co_u32 v27, vcc_lo, s0, v4
	v_mad_co_u64_u32 v[12:13], null, s5, v87, v[9:10]
	s_wait_alu 0xfffd
	v_add_co_ci_u32_e32 v28, vcc_lo, s1, v5, vcc_lo
	s_delay_alu instid0(VALU_DEP_3) | instskip(SKIP_1) | instid1(VALU_DEP_2)
	v_add_co_u32 v13, vcc_lo, v27, v6
	s_wait_alu 0xfffd
	v_add_co_ci_u32_e32 v14, vcc_lo, v28, v7, vcc_lo
	ds_load_b128 v[4:7], v26 offset:896
	v_mov_b32_e32 v9, v12
	s_wait_dscnt 0x1
	global_store_b128 v[13:14], v[0:3], off
	v_dual_mov_b32 v0, v11 :: v_dual_mov_b32 v1, v16
	v_lshlrev_b64_e32 v[2:3], 4, v[8:9]
	s_delay_alu instid0(VALU_DEP_2) | instskip(NEXT) | instid1(VALU_DEP_2)
	v_mad_co_u64_u32 v[8:9], null, s5, v85, v[0:1]
	v_mad_co_u64_u32 v[0:1], null, s5, v86, v[1:2]
	v_mov_b32_e32 v1, v18
	v_add_co_u32 v19, vcc_lo, v27, v2
	s_wait_alu 0xfffd
	v_add_co_ci_u32_e32 v20, vcc_lo, v28, v3, vcc_lo
	v_mov_b32_e32 v11, v8
	v_mad_co_u64_u32 v[21:22], null, s5, v84, v[1:2]
	v_mov_b32_e32 v16, v0
	s_delay_alu instid0(VALU_DEP_3)
	v_lshlrev_b64_e32 v[22:23], 4, v[10:11]
	ds_load_b128 v[0:3], v26 offset:1792
	ds_load_b128 v[8:11], v26 offset:2688
	v_lshlrev_b64_e32 v[24:25], 4, v[15:16]
	v_mov_b32_e32 v18, v21
	ds_load_b128 v[12:15], v26 offset:3584
	v_add_co_u32 v21, vcc_lo, v27, v22
	s_wait_alu 0xfffd
	v_add_co_ci_u32_e32 v22, vcc_lo, v28, v23, vcc_lo
	v_lshlrev_b64_e32 v[16:17], 4, v[17:18]
	v_add_co_u32 v23, vcc_lo, v27, v24
	s_wait_alu 0xfffd
	v_add_co_ci_u32_e32 v24, vcc_lo, v28, v25, vcc_lo
	s_delay_alu instid0(VALU_DEP_3)
	v_add_co_u32 v16, vcc_lo, v27, v16
	s_wait_alu 0xfffd
	v_add_co_ci_u32_e32 v17, vcc_lo, v28, v17, vcc_lo
	s_wait_dscnt 0x3
	global_store_b128 v[19:20], v[4:7], off
	s_wait_dscnt 0x2
	global_store_b128 v[21:22], v[0:3], off
	;; [unrolled: 2-line block ×4, first 2 shown]
.LBB0_22:
	s_nop 0
	s_sendmsg sendmsg(MSG_DEALLOC_VGPRS)
	s_endpgm
	.section	.rodata,"a",@progbits
	.p2align	6, 0x0
	.amdhsa_kernel fft_rtc_back_len280_factors_8_5_7_wgs_392_tpt_56_dp_op_CI_CI_sbcc_twdbase8_2step
		.amdhsa_group_segment_fixed_size 0
		.amdhsa_private_segment_fixed_size 0
		.amdhsa_kernarg_size 112
		.amdhsa_user_sgpr_count 2
		.amdhsa_user_sgpr_dispatch_ptr 0
		.amdhsa_user_sgpr_queue_ptr 0
		.amdhsa_user_sgpr_kernarg_segment_ptr 1
		.amdhsa_user_sgpr_dispatch_id 0
		.amdhsa_user_sgpr_private_segment_size 0
		.amdhsa_wavefront_size32 1
		.amdhsa_uses_dynamic_stack 0
		.amdhsa_enable_private_segment 0
		.amdhsa_system_sgpr_workgroup_id_x 1
		.amdhsa_system_sgpr_workgroup_id_y 0
		.amdhsa_system_sgpr_workgroup_id_z 0
		.amdhsa_system_sgpr_workgroup_info 0
		.amdhsa_system_vgpr_workitem_id 0
		.amdhsa_next_free_vgpr 122
		.amdhsa_next_free_sgpr 61
		.amdhsa_reserve_vcc 1
		.amdhsa_float_round_mode_32 0
		.amdhsa_float_round_mode_16_64 0
		.amdhsa_float_denorm_mode_32 3
		.amdhsa_float_denorm_mode_16_64 3
		.amdhsa_fp16_overflow 0
		.amdhsa_workgroup_processor_mode 1
		.amdhsa_memory_ordered 1
		.amdhsa_forward_progress 0
		.amdhsa_round_robin_scheduling 0
		.amdhsa_exception_fp_ieee_invalid_op 0
		.amdhsa_exception_fp_denorm_src 0
		.amdhsa_exception_fp_ieee_div_zero 0
		.amdhsa_exception_fp_ieee_overflow 0
		.amdhsa_exception_fp_ieee_underflow 0
		.amdhsa_exception_fp_ieee_inexact 0
		.amdhsa_exception_int_div_zero 0
	.end_amdhsa_kernel
	.text
.Lfunc_end0:
	.size	fft_rtc_back_len280_factors_8_5_7_wgs_392_tpt_56_dp_op_CI_CI_sbcc_twdbase8_2step, .Lfunc_end0-fft_rtc_back_len280_factors_8_5_7_wgs_392_tpt_56_dp_op_CI_CI_sbcc_twdbase8_2step
                                        ; -- End function
	.section	.AMDGPU.csdata,"",@progbits
; Kernel info:
; codeLenInByte = 6684
; NumSgprs: 63
; NumVgprs: 122
; ScratchSize: 0
; MemoryBound: 0
; FloatMode: 240
; IeeeMode: 1
; LDSByteSize: 0 bytes/workgroup (compile time only)
; SGPRBlocks: 7
; VGPRBlocks: 15
; NumSGPRsForWavesPerEU: 63
; NumVGPRsForWavesPerEU: 122
; Occupancy: 10
; WaveLimiterHint : 1
; COMPUTE_PGM_RSRC2:SCRATCH_EN: 0
; COMPUTE_PGM_RSRC2:USER_SGPR: 2
; COMPUTE_PGM_RSRC2:TRAP_HANDLER: 0
; COMPUTE_PGM_RSRC2:TGID_X_EN: 1
; COMPUTE_PGM_RSRC2:TGID_Y_EN: 0
; COMPUTE_PGM_RSRC2:TGID_Z_EN: 0
; COMPUTE_PGM_RSRC2:TIDIG_COMP_CNT: 0
	.text
	.p2alignl 7, 3214868480
	.fill 96, 4, 3214868480
	.type	__hip_cuid_10c8efd3d31d55,@object ; @__hip_cuid_10c8efd3d31d55
	.section	.bss,"aw",@nobits
	.globl	__hip_cuid_10c8efd3d31d55
__hip_cuid_10c8efd3d31d55:
	.byte	0                               ; 0x0
	.size	__hip_cuid_10c8efd3d31d55, 1

	.ident	"AMD clang version 19.0.0git (https://github.com/RadeonOpenCompute/llvm-project roc-6.4.0 25133 c7fe45cf4b819c5991fe208aaa96edf142730f1d)"
	.section	".note.GNU-stack","",@progbits
	.addrsig
	.addrsig_sym __hip_cuid_10c8efd3d31d55
	.amdgpu_metadata
---
amdhsa.kernels:
  - .args:
      - .actual_access:  read_only
        .address_space:  global
        .offset:         0
        .size:           8
        .value_kind:     global_buffer
      - .address_space:  global
        .offset:         8
        .size:           8
        .value_kind:     global_buffer
      - .offset:         16
        .size:           8
        .value_kind:     by_value
      - .actual_access:  read_only
        .address_space:  global
        .offset:         24
        .size:           8
        .value_kind:     global_buffer
      - .actual_access:  read_only
        .address_space:  global
        .offset:         32
        .size:           8
        .value_kind:     global_buffer
      - .actual_access:  read_only
        .address_space:  global
        .offset:         40
        .size:           8
        .value_kind:     global_buffer
      - .offset:         48
        .size:           8
        .value_kind:     by_value
      - .actual_access:  read_only
        .address_space:  global
        .offset:         56
        .size:           8
        .value_kind:     global_buffer
      - .actual_access:  read_only
        .address_space:  global
        .offset:         64
        .size:           8
        .value_kind:     global_buffer
      - .offset:         72
        .size:           4
        .value_kind:     by_value
      - .actual_access:  read_only
        .address_space:  global
        .offset:         80
        .size:           8
        .value_kind:     global_buffer
      - .actual_access:  read_only
        .address_space:  global
        .offset:         88
        .size:           8
        .value_kind:     global_buffer
      - .actual_access:  read_only
        .address_space:  global
        .offset:         96
        .size:           8
        .value_kind:     global_buffer
      - .actual_access:  write_only
        .address_space:  global
        .offset:         104
        .size:           8
        .value_kind:     global_buffer
    .group_segment_fixed_size: 0
    .kernarg_segment_align: 8
    .kernarg_segment_size: 112
    .language:       OpenCL C
    .language_version:
      - 2
      - 0
    .max_flat_workgroup_size: 392
    .name:           fft_rtc_back_len280_factors_8_5_7_wgs_392_tpt_56_dp_op_CI_CI_sbcc_twdbase8_2step
    .private_segment_fixed_size: 0
    .sgpr_count:     63
    .sgpr_spill_count: 0
    .symbol:         fft_rtc_back_len280_factors_8_5_7_wgs_392_tpt_56_dp_op_CI_CI_sbcc_twdbase8_2step.kd
    .uniform_work_group_size: 1
    .uses_dynamic_stack: false
    .vgpr_count:     122
    .vgpr_spill_count: 0
    .wavefront_size: 32
    .workgroup_processor_mode: 1
amdhsa.target:   amdgcn-amd-amdhsa--gfx1201
amdhsa.version:
  - 1
  - 2
...

	.end_amdgpu_metadata
